;; amdgpu-corpus repo=ROCm/rocFFT kind=compiled arch=gfx950 opt=O3
	.text
	.amdgcn_target "amdgcn-amd-amdhsa--gfx950"
	.amdhsa_code_object_version 6
	.protected	fft_rtc_back_len128_factors_16_8_wgs_256_tpt_16_sp_op_CI_CI_sbcc_dirReg ; -- Begin function fft_rtc_back_len128_factors_16_8_wgs_256_tpt_16_sp_op_CI_CI_sbcc_dirReg
	.globl	fft_rtc_back_len128_factors_16_8_wgs_256_tpt_16_sp_op_CI_CI_sbcc_dirReg
	.p2align	8
	.type	fft_rtc_back_len128_factors_16_8_wgs_256_tpt_16_sp_op_CI_CI_sbcc_dirReg,@function
fft_rtc_back_len128_factors_16_8_wgs_256_tpt_16_sp_op_CI_CI_sbcc_dirReg: ; @fft_rtc_back_len128_factors_16_8_wgs_256_tpt_16_sp_op_CI_CI_sbcc_dirReg
; %bb.0:
	s_load_dwordx4 s[4:7], s[0:1], 0x18
	s_load_dwordx2 s[26:27], s[0:1], 0x28
	s_mov_b32 s3, 0
	s_mov_b64 s[24:25], 0
	s_waitcnt lgkmcnt(0)
	s_load_dwordx2 s[18:19], s[4:5], 0x8
	s_waitcnt lgkmcnt(0)
	s_add_u32 s8, s18, -1
	s_addc_u32 s9, s19, -1
	s_lshr_b64 s[8:9], s[8:9], 4
	s_add_u32 s28, s8, 1
	s_addc_u32 s29, s9, 0
	v_mov_b64_e32 v[2:3], s[28:29]
	v_cmp_lt_u64_e32 vcc, s[2:3], v[2:3]
	s_cbranch_vccnz .LBB0_2
; %bb.1:
	v_cvt_f32_u32_e32 v1, s28
	s_sub_i32 s8, 0, s28
	s_mov_b32 s25, s3
	v_rcp_iflag_f32_e32 v1, v1
	s_nop 0
	v_mul_f32_e32 v1, 0x4f7ffffe, v1
	v_cvt_u32_f32_e32 v1, v1
	s_nop 0
	v_readfirstlane_b32 s9, v1
	s_mul_i32 s8, s8, s9
	s_mul_hi_u32 s8, s9, s8
	s_add_i32 s9, s9, s8
	s_mul_hi_u32 s8, s2, s9
	s_mul_i32 s10, s8, s28
	s_sub_i32 s10, s2, s10
	s_add_i32 s9, s8, 1
	s_sub_i32 s11, s10, s28
	s_cmp_ge_u32 s10, s28
	s_cselect_b32 s8, s9, s8
	s_cselect_b32 s10, s11, s10
	s_add_i32 s9, s8, 1
	s_cmp_ge_u32 s10, s28
	s_cselect_b32 s24, s9, s8
.LBB0_2:
	s_mul_i32 s22, s24, s29
	s_mul_hi_u32 s23, s24, s28
	s_add_i32 s23, s23, s22
	s_mul_i32 s22, s24, s28
	s_sub_u32 s34, s2, s22
	s_load_dwordx2 s[20:21], s[0:1], 0x0
	s_load_dwordx4 s[12:15], s[6:7], 0x0
	s_load_dwordx4 s[8:11], s[26:27], 0x0
	s_load_dwordx2 s[16:17], s[0:1], 0x68
	s_load_dwordx2 s[30:31], s[0:1], 0x10
	s_subb_u32 s35, 0, s23
	v_mov_b32_e32 v1, s34
	s_lshl_b64 s[22:23], s[34:35], 4
	v_alignbit_b32 v1, s35, v1, 28
	s_waitcnt lgkmcnt(0)
	v_mul_lo_u32 v2, s14, v1
	s_mul_hi_u32 s33, s14, s22
	v_add_u32_e32 v2, s33, v2
	s_mul_i32 s33, s15, s22
	v_add_u32_e32 v5, s33, v2
	s_mul_i32 s33, s14, s22
	v_mov_b32_e32 v4, s33
	v_mul_lo_u32 v1, s10, v1
	s_mul_hi_u32 s33, s10, s22
	v_add_u32_e32 v1, s33, v1
	s_mul_i32 s33, s11, s22
	v_add_u32_e32 v3, s33, v1
	s_mul_i32 s33, s10, s22
	v_cmp_lt_u64_e64 s[34:35], s[30:31], 3
	v_mov_b32_e32 v2, s33
	s_and_b64 vcc, exec, s[34:35]
	s_cbranch_vccnz .LBB0_11
; %bb.3:
	s_add_u32 s34, s26, 16
	s_addc_u32 s35, s27, 0
	s_add_u32 s36, s6, 16
	s_addc_u32 s37, s7, 0
	s_add_u32 s38, s4, 16
	s_addc_u32 s39, s5, 0
	s_mov_b64 s[40:41], 2
	s_mov_b32 s42, 0
	v_mov_b64_e32 v[6:7], s[30:31]
	s_branch .LBB0_5
.LBB0_4:                                ;   in Loop: Header=BB0_5 Depth=1
	s_mul_i32 s29, s44, s29
	s_mul_hi_u32 s33, s44, s28
	s_add_i32 s29, s33, s29
	s_mul_i32 s33, s45, s28
	s_add_i32 s29, s29, s33
	s_mul_i32 s33, s4, s45
	s_mul_hi_u32 s43, s4, s44
	s_load_dwordx2 s[46:47], s[36:37], 0x0
	s_add_i32 s33, s43, s33
	s_mul_i32 s43, s5, s44
	s_add_i32 s33, s33, s43
	s_mul_i32 s43, s4, s44
	s_sub_u32 s43, s24, s43
	s_subb_u32 s33, s25, s33
	s_waitcnt lgkmcnt(0)
	s_mul_i32 s24, s46, s33
	s_mul_hi_u32 s25, s46, s43
	s_mul_i32 s28, s44, s28
	s_add_i32 s44, s25, s24
	s_load_dwordx2 s[24:25], s[34:35], 0x0
	s_mul_i32 s45, s47, s43
	s_add_i32 s45, s44, s45
	s_mul_i32 s44, s46, s43
	v_lshl_add_u64 v[4:5], s[44:45], 0, v[4:5]
	s_waitcnt lgkmcnt(0)
	s_mul_i32 s33, s24, s33
	s_mul_hi_u32 s44, s24, s43
	s_add_i32 s33, s44, s33
	s_mul_i32 s25, s25, s43
	s_add_i32 s25, s33, s25
	s_add_u32 s40, s40, 1
	s_addc_u32 s41, s41, 0
	s_add_u32 s34, s34, 8
	s_addc_u32 s35, s35, 0
	;; [unrolled: 2-line block ×3, first 2 shown]
	s_mul_i32 s24, s24, s43
	s_add_u32 s38, s38, 8
	v_cmp_ge_u64_e32 vcc, s[40:41], v[6:7]
	v_lshl_add_u64 v[2:3], s[24:25], 0, v[2:3]
	s_addc_u32 s39, s39, 0
	s_mov_b64 s[24:25], s[4:5]
	s_cbranch_vccnz .LBB0_9
.LBB0_5:                                ; =>This Inner Loop Header: Depth=1
	s_load_dwordx2 s[44:45], s[38:39], 0x0
	s_waitcnt lgkmcnt(0)
	s_or_b64 s[4:5], s[24:25], s[44:45]
	s_mov_b32 s43, s5
	s_cmp_lg_u64 s[42:43], 0
	s_cbranch_scc0 .LBB0_7
; %bb.6:                                ;   in Loop: Header=BB0_5 Depth=1
	v_cvt_f32_u32_e32 v1, s44
	v_cvt_f32_u32_e32 v8, s45
	s_sub_u32 s4, 0, s44
	s_subb_u32 s5, 0, s45
	v_fmac_f32_e32 v1, 0x4f800000, v8
	v_rcp_f32_e32 v1, v1
	s_nop 0
	v_mul_f32_e32 v1, 0x5f7ffffc, v1
	v_mul_f32_e32 v8, 0x2f800000, v1
	v_trunc_f32_e32 v8, v8
	v_fmac_f32_e32 v1, 0xcf800000, v8
	v_cvt_u32_f32_e32 v8, v8
	v_cvt_u32_f32_e32 v1, v1
	v_readfirstlane_b32 s33, v8
	v_readfirstlane_b32 s43, v1
	s_mul_i32 s46, s4, s33
	s_mul_hi_u32 s48, s4, s43
	s_mul_i32 s47, s5, s43
	s_add_i32 s46, s48, s46
	s_mul_i32 s49, s4, s43
	s_add_i32 s46, s46, s47
	s_mul_hi_u32 s47, s43, s46
	s_mul_i32 s48, s43, s46
	s_mul_hi_u32 s43, s43, s49
	s_add_u32 s43, s43, s48
	s_addc_u32 s47, 0, s47
	s_mul_hi_u32 s50, s33, s49
	s_mul_i32 s49, s33, s49
	s_add_u32 s43, s43, s49
	s_mul_hi_u32 s48, s33, s46
	s_addc_u32 s43, s47, s50
	s_addc_u32 s47, s48, 0
	s_mul_i32 s46, s33, s46
	s_add_u32 s43, s43, s46
	s_addc_u32 s46, 0, s47
	v_add_co_u32_e32 v1, vcc, s43, v1
	s_cmp_lg_u64 vcc, 0
	s_addc_u32 s33, s33, s46
	v_readfirstlane_b32 s46, v1
	s_mul_i32 s43, s4, s33
	s_mul_hi_u32 s47, s4, s46
	s_add_i32 s43, s47, s43
	s_mul_i32 s5, s5, s46
	s_add_i32 s43, s43, s5
	s_mul_i32 s4, s4, s46
	s_mul_hi_u32 s47, s33, s4
	s_mul_i32 s48, s33, s4
	s_mul_i32 s50, s46, s43
	s_mul_hi_u32 s4, s46, s4
	s_mul_hi_u32 s49, s46, s43
	s_add_u32 s4, s4, s50
	s_addc_u32 s46, 0, s49
	s_add_u32 s4, s4, s48
	s_mul_hi_u32 s5, s33, s43
	s_addc_u32 s4, s46, s47
	s_addc_u32 s5, s5, 0
	s_mul_i32 s43, s33, s43
	s_add_u32 s4, s4, s43
	s_addc_u32 s5, 0, s5
	v_add_co_u32_e32 v1, vcc, s4, v1
	s_cmp_lg_u64 vcc, 0
	s_addc_u32 s4, s33, s5
	v_readfirstlane_b32 s43, v1
	s_mul_i32 s33, s24, s4
	s_mul_hi_u32 s46, s24, s43
	s_mul_hi_u32 s5, s24, s4
	s_add_u32 s33, s46, s33
	s_addc_u32 s5, 0, s5
	s_mul_hi_u32 s47, s25, s43
	s_mul_i32 s43, s25, s43
	s_add_u32 s33, s33, s43
	s_mul_hi_u32 s46, s25, s4
	s_addc_u32 s5, s5, s47
	s_addc_u32 s33, s46, 0
	s_mul_i32 s4, s25, s4
	s_add_u32 s43, s5, s4
	s_addc_u32 s33, 0, s33
	s_mul_i32 s4, s44, s33
	s_mul_hi_u32 s5, s44, s43
	s_add_i32 s4, s5, s4
	s_mul_i32 s5, s45, s43
	s_add_i32 s46, s4, s5
	s_mul_i32 s5, s44, s43
	v_mov_b32_e32 v1, s5
	s_sub_i32 s4, s25, s46
	v_sub_co_u32_e32 v1, vcc, s24, v1
	s_cmp_lg_u64 vcc, 0
	s_subb_u32 s47, s4, s45
	v_subrev_co_u32_e64 v8, s[4:5], s44, v1
	s_cmp_lg_u64 s[4:5], 0
	s_subb_u32 s4, s47, 0
	s_cmp_ge_u32 s4, s45
	v_readfirstlane_b32 s47, v8
	s_cselect_b32 s5, -1, 0
	s_cmp_ge_u32 s47, s44
	s_cselect_b32 s47, -1, 0
	s_cmp_eq_u32 s4, s45
	s_cselect_b32 s4, s47, s5
	s_add_u32 s5, s43, 1
	s_addc_u32 s47, s33, 0
	s_add_u32 s48, s43, 2
	s_addc_u32 s49, s33, 0
	s_cmp_lg_u32 s4, 0
	s_cselect_b32 s4, s48, s5
	s_cselect_b32 s5, s49, s47
	s_cmp_lg_u64 vcc, 0
	s_subb_u32 s46, s25, s46
	s_cmp_ge_u32 s46, s45
	v_readfirstlane_b32 s48, v1
	s_cselect_b32 s47, -1, 0
	s_cmp_ge_u32 s48, s44
	s_cselect_b32 s48, -1, 0
	s_cmp_eq_u32 s46, s45
	s_cselect_b32 s46, s48, s47
	s_cmp_lg_u32 s46, 0
	s_cselect_b32 s5, s5, s33
	s_cselect_b32 s4, s4, s43
	s_cbranch_execnz .LBB0_4
	s_branch .LBB0_8
.LBB0_7:                                ;   in Loop: Header=BB0_5 Depth=1
                                        ; implicit-def: $sgpr4_sgpr5
.LBB0_8:                                ;   in Loop: Header=BB0_5 Depth=1
	v_cvt_f32_u32_e32 v1, s44
	s_sub_i32 s4, 0, s44
	v_rcp_iflag_f32_e32 v1, v1
	s_nop 0
	v_mul_f32_e32 v1, 0x4f7ffffe, v1
	v_cvt_u32_f32_e32 v1, v1
	s_nop 0
	v_readfirstlane_b32 s5, v1
	s_mul_i32 s4, s4, s5
	s_mul_hi_u32 s4, s5, s4
	s_add_i32 s5, s5, s4
	s_mul_hi_u32 s4, s24, s5
	s_mul_i32 s33, s4, s44
	s_sub_i32 s33, s24, s33
	s_add_i32 s5, s4, 1
	s_sub_i32 s43, s33, s44
	s_cmp_ge_u32 s33, s44
	s_cselect_b32 s4, s5, s4
	s_cselect_b32 s33, s43, s33
	s_add_i32 s5, s4, 1
	s_cmp_ge_u32 s33, s44
	s_cselect_b32 s4, s5, s4
	s_mov_b32 s5, s42
	s_branch .LBB0_4
.LBB0_9:
	v_mov_b64_e32 v[6:7], s[28:29]
	v_cmp_lt_u64_e32 vcc, s[2:3], v[6:7]
	s_mov_b64 s[24:25], 0
	s_cbranch_vccnz .LBB0_11
; %bb.10:
	v_cvt_f32_u32_e32 v1, s28
	s_sub_i32 s3, 0, s28
	v_rcp_iflag_f32_e32 v1, v1
	s_nop 0
	v_mul_f32_e32 v1, 0x4f7ffffe, v1
	v_cvt_u32_f32_e32 v1, v1
	s_nop 0
	v_readfirstlane_b32 s4, v1
	s_mul_i32 s3, s3, s4
	s_mul_hi_u32 s3, s4, s3
	s_add_i32 s4, s4, s3
	s_mul_hi_u32 s3, s2, s4
	s_mul_i32 s5, s3, s28
	s_sub_i32 s2, s2, s5
	s_add_i32 s4, s3, 1
	s_sub_i32 s5, s2, s28
	s_cmp_ge_u32 s2, s28
	s_cselect_b32 s3, s4, s3
	s_cselect_b32 s2, s5, s2
	s_add_i32 s4, s3, 1
	s_cmp_ge_u32 s2, s28
	s_cselect_b32 s24, s4, s3
.LBB0_11:
	s_load_dwordx2 s[28:29], s[0:1], 0x60
	s_lshl_b64 s[0:1], s[30:31], 3
	s_add_u32 s2, s6, s0
	s_addc_u32 s3, s7, s1
	s_load_dwordx2 s[2:3], s[2:3], 0x0
	v_mov_b64_e32 v[6:7], s[18:19]
	v_and_b32_e32 v39, 15, v0
	v_lshrrev_b32_e32 v38, 4, v0
                                        ; implicit-def: $vgpr22_vgpr23
                                        ; implicit-def: $vgpr10_vgpr11
                                        ; implicit-def: $vgpr26_vgpr27
                                        ; implicit-def: $vgpr12_vgpr13
                                        ; implicit-def: $vgpr28_vgpr29
                                        ; implicit-def: $vgpr18_vgpr19
                                        ; implicit-def: $vgpr34_vgpr35
                                        ; implicit-def: $vgpr8_vgpr9
                                        ; implicit-def: $vgpr24_vgpr25
                                        ; implicit-def: $vgpr14_vgpr15
                                        ; implicit-def: $vgpr30_vgpr31
                                        ; implicit-def: $vgpr16_vgpr17
                                        ; implicit-def: $vgpr32_vgpr33
                                        ; implicit-def: $vgpr20_vgpr21
                                        ; implicit-def: $vgpr36_vgpr37
	s_waitcnt lgkmcnt(0)
	s_mul_i32 s3, s3, s24
	s_mul_hi_u32 s4, s2, s24
	s_add_i32 s3, s4, s3
	s_add_u32 s4, s26, s0
	s_addc_u32 s5, s27, s1
	s_mul_i32 s2, s2, s24
	s_add_u32 s0, s22, 16
	v_lshl_add_u64 v[4:5], s[2:3], 0, v[4:5]
	s_addc_u32 s1, s23, 0
	s_movk_i32 s2, 0x80
	v_cmp_gt_u64_e32 vcc, s[0:1], v[6:7]
	v_cmp_le_u64_e64 s[0:1], s[0:1], v[6:7]
	v_cmp_gt_u32_e64 s[2:3], s2, v0
	s_and_b64 s[26:27], s[2:3], s[0:1]
                                        ; implicit-def: $vgpr6_vgpr7
	s_and_saveexec_b64 s[6:7], s[26:27]
	s_cbranch_execz .LBB0_13
; %bb.12:
	v_mad_u64_u32 v[0:1], s[26:27], s14, v39, 0
	v_mov_b32_e32 v6, v1
	v_mad_u64_u32 v[6:7], s[26:27], s15, v39, v[6:7]
	v_mov_b32_e32 v1, v6
	;; [unrolled: 2-line block ×4, first 2 shown]
	v_lshlrev_b64 v[8:9], 3, v[4:5]
	v_lshl_add_u64 v[8:9], s[28:29], 0, v[8:9]
	v_lshl_add_u64 v[0:1], v[0:1], 3, v[8:9]
	v_or_b32_e32 v9, 8, v38
	v_lshl_add_u64 v[36:37], v[6:7], 3, v[0:1]
	v_mad_u64_u32 v[6:7], s[26:27], s12, v9, 0
	v_mov_b32_e32 v8, v7
	v_mad_u64_u32 v[8:9], s[26:27], s13, v9, v[8:9]
	v_mov_b32_e32 v7, v8
	v_or_b32_e32 v9, 16, v38
	v_lshl_add_u64 v[40:41], v[6:7], 3, v[0:1]
	v_mad_u64_u32 v[6:7], s[26:27], s12, v9, 0
	v_mov_b32_e32 v8, v7
	v_mad_u64_u32 v[8:9], s[26:27], s13, v9, v[8:9]
	v_mov_b32_e32 v7, v8
	;; [unrolled: 6-line block ×15, first 2 shown]
	v_lshl_add_u64 v[0:1], v[6:7], 3, v[0:1]
	global_load_dwordx2 v[6:7], v[36:37], off
	global_load_dwordx2 v[8:9], v[40:41], off
	;; [unrolled: 1-line block ×15, first 2 shown]
                                        ; kill: killed $vgpr50_vgpr51
                                        ; kill: killed $vgpr42_vgpr43
                                        ; kill: killed $vgpr64_vgpr65
                                        ; kill: killed $vgpr56_vgpr57
                                        ; kill: killed $vgpr48_vgpr49
                                        ; kill: killed $vgpr40_vgpr41
                                        ; kill: killed $vgpr62_vgpr63
                                        ; kill: killed $vgpr54_vgpr55
                                        ; kill: killed $vgpr46_vgpr47
                                        ; kill: killed $vgpr36_vgpr37
                                        ; kill: killed $vgpr60_vgpr61
                                        ; kill: killed $vgpr52_vgpr53
                                        ; kill: killed $vgpr44_vgpr45
                                        ; kill: killed $vgpr66_vgpr67
                                        ; kill: killed $vgpr58_vgpr59
	global_load_dwordx2 v[36:37], v[0:1], off
.LBB0_13:
	s_or_b64 exec, exec, s[6:7]
	s_load_dwordx2 s[4:5], s[4:5], 0x0
	s_andn2_b64 vcc, exec, vcc
	v_or_b32_e32 v0, s22, v39
	s_cbranch_vccnz .LBB0_17
; %bb.14:
	v_mov_b32_e32 v1, s23
	v_cmp_gt_u64_e32 vcc, s[18:19], v[0:1]
	s_and_b64 s[26:27], s[2:3], vcc
	s_and_saveexec_b64 s[6:7], s[26:27]
	s_cbranch_execz .LBB0_16
; %bb.15:
	s_waitcnt vmcnt(15)
	v_mad_u64_u32 v[6:7], s[26:27], s14, v39, 0
	s_waitcnt vmcnt(14)
	v_mov_b32_e32 v8, v7
	v_mad_u64_u32 v[8:9], s[14:15], s15, v39, v[8:9]
	v_mov_b32_e32 v7, v8
	v_mad_u64_u32 v[8:9], s[14:15], s12, v38, 0
	s_waitcnt vmcnt(11)
	v_mov_b32_e32 v10, v9
	v_lshlrev_b64 v[4:5], 3, v[4:5]
	v_mad_u64_u32 v[10:11], s[14:15], s13, v38, v[10:11]
	v_lshl_add_u64 v[4:5], s[28:29], 0, v[4:5]
	v_or_b32_e32 v1, 8, v38
	v_mov_b32_e32 v9, v10
	v_lshl_add_u64 v[4:5], v[6:7], 3, v[4:5]
	v_mad_u64_u32 v[6:7], s[14:15], s12, v1, 0
	s_waitcnt vmcnt(0)
	v_lshl_add_u64 v[36:37], v[8:9], 3, v[4:5]
	v_mov_b32_e32 v8, v7
	v_mad_u64_u32 v[8:9], s[14:15], s13, v1, v[8:9]
	v_mov_b32_e32 v7, v8
	v_or_b32_e32 v1, 16, v38
	v_lshl_add_u64 v[40:41], v[6:7], 3, v[4:5]
	v_mad_u64_u32 v[6:7], s[14:15], s12, v1, 0
	v_mov_b32_e32 v8, v7
	v_mad_u64_u32 v[8:9], s[14:15], s13, v1, v[8:9]
	v_mov_b32_e32 v7, v8
	v_or_b32_e32 v1, 24, v38
	v_lshl_add_u64 v[42:43], v[6:7], 3, v[4:5]
	v_mad_u64_u32 v[6:7], s[14:15], s12, v1, 0
	;; [unrolled: 6-line block ×14, first 2 shown]
	v_mov_b32_e32 v8, v7
	v_mad_u64_u32 v[8:9], s[12:13], s13, v1, v[8:9]
	v_mov_b32_e32 v7, v8
	v_lshl_add_u64 v[4:5], v[6:7], 3, v[4:5]
	global_load_dwordx2 v[6:7], v[36:37], off
	global_load_dwordx2 v[8:9], v[40:41], off
	;; [unrolled: 1-line block ×15, first 2 shown]
                                        ; kill: killed $vgpr60_vgpr61
                                        ; kill: killed $vgpr52_vgpr53
                                        ; kill: killed $vgpr44_vgpr45
                                        ; kill: killed $vgpr66_vgpr67
                                        ; kill: killed $vgpr58_vgpr59
                                        ; kill: killed $vgpr50_vgpr51
                                        ; kill: killed $vgpr42_vgpr43
                                        ; kill: killed $vgpr64_vgpr65
                                        ; kill: killed $vgpr56_vgpr57
                                        ; kill: killed $vgpr48_vgpr49
                                        ; kill: killed $vgpr40_vgpr41
                                        ; kill: killed $vgpr62_vgpr63
                                        ; kill: killed $vgpr54_vgpr55
                                        ; kill: killed $vgpr46_vgpr47
                                        ; kill: killed $vgpr36_vgpr37
	global_load_dwordx2 v[36:37], v[4:5], off
.LBB0_16:
	s_or_b64 exec, exec, s[6:7]
.LBB0_17:
	v_lshlrev_b32_e32 v4, 3, v39
	s_and_saveexec_b64 s[6:7], s[2:3]
	s_cbranch_execz .LBB0_19
; %bb.18:
	s_waitcnt vmcnt(5)
	v_pk_add_f32 v[28:29], v[12:13], v[28:29] neg_lo:[0,1] neg_hi:[0,1]
	s_waitcnt vmcnt(1)
	v_pk_add_f32 v[34:35], v[18:19], v[34:35] neg_lo:[0,1] neg_hi:[0,1]
	v_pk_add_f32 v[22:23], v[6:7], v[22:23] neg_lo:[0,1] neg_hi:[0,1]
	;; [unrolled: 1-line block ×3, first 2 shown]
	v_pk_fma_f32 v[18:19], v[18:19], 2.0, v[34:35] op_sel_hi:[1,0,1] neg_lo:[0,0,1] neg_hi:[0,0,1]
	v_pk_add_f32 v[40:41], v[28:29], v[34:35] op_sel:[0,1] op_sel_hi:[1,0]
	v_pk_add_f32 v[34:35], v[28:29], v[34:35] op_sel:[0,1] op_sel_hi:[1,0] neg_lo:[0,1] neg_hi:[0,1]
	v_pk_add_f32 v[32:33], v[16:17], v[32:33] neg_lo:[0,1] neg_hi:[0,1]
	s_waitcnt vmcnt(0)
	v_pk_add_f32 v[36:37], v[20:21], v[36:37] neg_lo:[0,1] neg_hi:[0,1]
	v_pk_fma_f32 v[10:11], v[10:11], 2.0, v[26:27] op_sel_hi:[1,0,1] neg_lo:[0,0,1] neg_hi:[0,0,1]
	v_mov_b32_e32 v41, v35
	v_pk_add_f32 v[34:35], v[22:23], v[26:27] op_sel:[0,1] op_sel_hi:[1,0]
	v_pk_add_f32 v[26:27], v[22:23], v[26:27] op_sel:[0,1] op_sel_hi:[1,0] neg_lo:[0,1] neg_hi:[0,1]
	v_pk_add_f32 v[24:25], v[8:9], v[24:25] neg_lo:[0,1] neg_hi:[0,1]
	v_pk_add_f32 v[30:31], v[14:15], v[30:31] neg_lo:[0,1] neg_hi:[0,1]
	v_pk_fma_f32 v[20:21], v[20:21], 2.0, v[36:37] op_sel_hi:[1,0,1] neg_lo:[0,0,1] neg_hi:[0,0,1]
	v_mov_b32_e32 v35, v27
	v_pk_add_f32 v[26:27], v[32:33], v[36:37] op_sel:[0,1] op_sel_hi:[1,0]
	v_pk_add_f32 v[36:37], v[32:33], v[36:37] op_sel:[0,1] op_sel_hi:[1,0] neg_lo:[0,1] neg_hi:[0,1]
	v_pk_fma_f32 v[12:13], v[12:13], 2.0, v[28:29] op_sel_hi:[1,0,1] neg_lo:[0,0,1] neg_hi:[0,0,1]
	v_pk_fma_f32 v[6:7], v[6:7], 2.0, v[22:23] op_sel_hi:[1,0,1] neg_lo:[0,0,1] neg_hi:[0,0,1]
	;; [unrolled: 1-line block ×3, first 2 shown]
	v_mov_b32_e32 v27, v37
	v_pk_add_f32 v[36:37], v[24:25], v[30:31] op_sel:[0,1] op_sel_hi:[1,0]
	v_pk_add_f32 v[30:31], v[24:25], v[30:31] op_sel:[0,1] op_sel_hi:[1,0] neg_lo:[0,1] neg_hi:[0,1]
	v_pk_fma_f32 v[28:29], v[28:29], 2.0, v[40:41] op_sel_hi:[1,0,1] neg_lo:[0,0,1] neg_hi:[0,0,1]
	s_mov_b32 s2, 0x3f3504f3
	v_pk_fma_f32 v[22:23], v[22:23], 2.0, v[34:35] op_sel_hi:[1,0,1] neg_lo:[0,0,1] neg_hi:[0,0,1]
	v_mov_b32_e32 v37, v31
	v_pk_mul_f32 v[30:31], v[28:29], s[2:3] op_sel_hi:[1,0]
	v_pk_fma_f32 v[28:29], v[28:29], s[2:3], v[22:23] op_sel_hi:[1,0,1] neg_lo:[1,0,0] neg_hi:[1,0,0]
	v_pk_fma_f32 v[8:9], v[8:9], 2.0, v[24:25] op_sel_hi:[1,0,1] neg_lo:[0,0,1] neg_hi:[0,0,1]
	v_pk_add_f32 v[42:43], v[28:29], v[30:31] op_sel:[0,1] op_sel_hi:[1,0]
	v_pk_add_f32 v[28:29], v[28:29], v[30:31] op_sel:[0,1] op_sel_hi:[1,0] neg_lo:[0,1] neg_hi:[0,1]
	v_pk_fma_f32 v[30:31], v[32:33], 2.0, v[26:27] op_sel_hi:[1,0,1] neg_lo:[0,0,1] neg_hi:[0,0,1]
	v_pk_fma_f32 v[24:25], v[24:25], 2.0, v[36:37] op_sel_hi:[1,0,1] neg_lo:[0,0,1] neg_hi:[0,0,1]
	;; [unrolled: 1-line block ×3, first 2 shown]
	v_pk_mul_f32 v[32:33], v[30:31], s[2:3] op_sel_hi:[1,0]
	v_pk_fma_f32 v[30:31], v[30:31], s[2:3], v[24:25] op_sel_hi:[1,0,1] neg_lo:[1,0,0] neg_hi:[1,0,0]
	v_pk_add_f32 v[18:19], v[12:13], v[18:19] neg_lo:[0,1] neg_hi:[0,1]
	v_pk_add_f32 v[44:45], v[30:31], v[32:33] op_sel:[0,1] op_sel_hi:[1,0]
	v_pk_add_f32 v[30:31], v[30:31], v[32:33] op_sel:[0,1] op_sel_hi:[1,0] neg_lo:[0,1] neg_hi:[0,1]
	v_pk_add_f32 v[10:11], v[6:7], v[10:11] neg_lo:[0,1] neg_hi:[0,1]
	v_pk_add_f32 v[20:21], v[16:17], v[20:21] neg_lo:[0,1] neg_hi:[0,1]
	;; [unrolled: 1-line block ×3, first 2 shown]
	v_mov_b32_e32 v43, v29
	v_mov_b32_e32 v45, v31
	v_pk_fma_f32 v[6:7], v[6:7], 2.0, v[10:11] op_sel_hi:[1,0,1] neg_lo:[0,0,1] neg_hi:[0,0,1]
	v_pk_fma_f32 v[12:13], v[12:13], 2.0, v[18:19] op_sel_hi:[1,0,1] neg_lo:[0,0,1] neg_hi:[0,0,1]
	;; [unrolled: 1-line block ×4, first 2 shown]
	s_mov_b32 s12, 0x3ec3ef15
	v_fmamk_f32 v32, v44, 0x3ec3ef15, v42
	s_mov_b32 s14, 0x3f6c835e
	v_pk_fma_f32 v[24:25], v[24:25], 2.0, v[44:45] op_sel_hi:[1,0,1] neg_lo:[0,0,1] neg_hi:[0,0,1]
	v_pk_fma_f32 v[22:23], v[22:23], 2.0, v[42:43] op_sel_hi:[1,0,1] neg_lo:[0,0,1] neg_hi:[0,0,1]
	v_pk_add_f32 v[12:13], v[6:7], v[12:13] neg_lo:[0,1] neg_hi:[0,1]
	v_pk_add_f32 v[16:17], v[8:9], v[16:17] neg_lo:[0,1] neg_hi:[0,1]
	v_fmamk_f32 v5, v31, 0x3ec3ef15, v29
	v_fmac_f32_e32 v32, 0x3f6c835e, v31
	v_pk_mul_f32 v[30:31], v[24:25], s[12:13] op_sel_hi:[1,0]
	v_pk_fma_f32 v[24:25], v[24:25], s[14:15], v[22:23] op_sel_hi:[1,0,1] neg_lo:[1,0,0] neg_hi:[1,0,0]
	v_pk_fma_f32 v[6:7], v[6:7], 2.0, v[12:13] op_sel_hi:[1,0,1] neg_lo:[0,0,1] neg_hi:[0,0,1]
	v_pk_fma_f32 v[8:9], v[8:9], 2.0, v[16:17] op_sel_hi:[1,0,1] neg_lo:[0,0,1] neg_hi:[0,0,1]
	v_fma_f32 v28, v42, 2.0, -v32
	v_pk_add_f32 v[42:43], v[24:25], v[30:31] op_sel:[0,1] op_sel_hi:[1,0]
	v_pk_add_f32 v[24:25], v[24:25], v[30:31] op_sel:[0,1] op_sel_hi:[1,0] neg_lo:[0,1] neg_hi:[0,1]
	v_lshlrev_b32_e32 v1, 11, v38
	v_pk_add_f32 v[8:9], v[6:7], v[8:9] neg_lo:[0,1] neg_hi:[0,1]
	v_mov_b32_e32 v43, v25
	v_add3_u32 v1, 0, v1, v4
	v_pk_fma_f32 v[6:7], v[6:7], 2.0, v[8:9] op_sel_hi:[1,0,1] neg_lo:[0,0,1] neg_hi:[0,0,1]
	v_pk_fma_f32 v[22:23], v[22:23], 2.0, v[42:43] op_sel_hi:[1,0,1] neg_lo:[0,0,1] neg_hi:[0,0,1]
	ds_write2_b64 v1, v[6:7], v[22:23] offset1:16
	v_pk_add_f32 v[6:7], v[10:11], v[18:19] op_sel:[0,1] op_sel_hi:[1,0]
	v_pk_add_f32 v[18:19], v[10:11], v[18:19] op_sel:[0,1] op_sel_hi:[1,0] neg_lo:[0,1] neg_hi:[0,1]
	v_fmamk_f32 v33, v44, 0xbf6c835e, v5
	v_mov_b32_e32 v7, v19
	v_pk_add_f32 v[18:19], v[14:15], v[20:21] op_sel:[0,1] op_sel_hi:[1,0]
	v_pk_add_f32 v[20:21], v[14:15], v[20:21] op_sel:[0,1] op_sel_hi:[1,0] neg_lo:[0,1] neg_hi:[0,1]
	v_pk_fma_f32 v[10:11], v[10:11], 2.0, v[6:7] op_sel_hi:[1,0,1] neg_lo:[0,0,1] neg_hi:[0,0,1]
	v_mov_b32_e32 v19, v21
	v_pk_fma_f32 v[14:15], v[14:15], 2.0, v[18:19] op_sel_hi:[1,0,1] neg_lo:[0,0,1] neg_hi:[0,0,1]
	v_fma_f32 v29, v29, 2.0, -v33
	v_pk_mul_f32 v[20:21], v[14:15], s[2:3] op_sel_hi:[1,0]
	v_pk_fma_f32 v[14:15], v[14:15], s[2:3], v[10:11] op_sel_hi:[1,0,1] neg_lo:[1,0,0] neg_hi:[1,0,0]
	s_nop 0
	v_pk_add_f32 v[22:23], v[14:15], v[20:21] op_sel:[0,1] op_sel_hi:[1,0]
	v_pk_add_f32 v[14:15], v[14:15], v[20:21] op_sel:[0,1] op_sel_hi:[1,0] neg_lo:[0,1] neg_hi:[0,1]
	v_pk_fma_f32 v[20:21], v[40:41], s[2:3], v[34:35] op_sel_hi:[1,0,1]
	v_mov_b32_e32 v23, v15
	v_pk_mul_f32 v[14:15], v[40:41], s[2:3] op_sel_hi:[1,0]
	v_pk_fma_f32 v[10:11], v[10:11], 2.0, v[22:23] op_sel_hi:[1,0,1] neg_lo:[0,0,1] neg_hi:[0,0,1]
	v_pk_add_f32 v[24:25], v[20:21], v[14:15] op_sel:[0,1] op_sel_hi:[1,0]
	v_pk_add_f32 v[14:15], v[20:21], v[14:15] op_sel:[0,1] op_sel_hi:[1,0] neg_lo:[0,1] neg_hi:[0,1]
	v_pk_mul_f32 v[20:21], v[26:27], s[2:3] op_sel_hi:[1,0]
	v_pk_fma_f32 v[26:27], v[26:27], s[2:3], v[36:37] op_sel_hi:[1,0,1]
	v_mov_b32_e32 v25, v15
	v_pk_add_f32 v[30:31], v[26:27], v[20:21] op_sel:[0,1] op_sel_hi:[1,0]
	v_pk_add_f32 v[20:21], v[26:27], v[20:21] op_sel:[0,1] op_sel_hi:[1,0] neg_lo:[0,1] neg_hi:[0,1]
	v_fmamk_f32 v26, v30, 0x3f6c835e, v24
	v_mov_b32_e32 v31, v21
	v_fmac_f32_e32 v26, 0x3ec3ef15, v21
	v_fmamk_f32 v5, v21, 0x3f6c835e, v15
	v_fma_f32 v14, v24, 2.0, -v26
	v_pk_fma_f32 v[20:21], v[36:37], 2.0, v[30:31] op_sel_hi:[1,0,1] neg_lo:[0,0,1] neg_hi:[0,0,1]
	v_pk_fma_f32 v[24:25], v[34:35], 2.0, v[24:25] op_sel_hi:[1,0,1] neg_lo:[0,0,1] neg_hi:[0,0,1]
	v_fmamk_f32 v27, v30, 0xbec3ef15, v5
	v_pk_mul_f32 v[30:31], v[20:21], s[14:15] op_sel_hi:[1,0]
	v_pk_fma_f32 v[20:21], v[20:21], s[12:13], v[24:25] op_sel_hi:[1,0,1] neg_lo:[1,0,0] neg_hi:[1,0,0]
	v_fma_f32 v15, v15, 2.0, -v27
	v_pk_add_f32 v[34:35], v[20:21], v[30:31] op_sel:[0,1] op_sel_hi:[1,0]
	v_pk_add_f32 v[20:21], v[20:21], v[30:31] op_sel:[0,1] op_sel_hi:[1,0] neg_lo:[0,1] neg_hi:[0,1]
	s_nop 0
	v_mov_b32_e32 v35, v21
	v_pk_fma_f32 v[20:21], v[24:25], 2.0, v[34:35] op_sel_hi:[1,0,1] neg_lo:[0,0,1] neg_hi:[0,0,1]
	ds_write2_b64 v1, v[10:11], v[20:21] offset0:32 offset1:48
	v_pk_add_f32 v[10:11], v[12:13], v[16:17] op_sel:[0,1] op_sel_hi:[1,0]
	v_pk_add_f32 v[16:17], v[12:13], v[16:17] op_sel:[0,1] op_sel_hi:[1,0] neg_lo:[0,1] neg_hi:[0,1]
	s_nop 0
	v_mov_b32_e32 v11, v17
	v_pk_fma_f32 v[12:13], v[12:13], 2.0, v[10:11] op_sel_hi:[1,0,1] neg_lo:[0,0,1] neg_hi:[0,0,1]
	ds_write2_b64 v1, v[12:13], v[28:29] offset0:64 offset1:80
	v_pk_mul_f32 v[12:13], v[18:19], s[2:3] op_sel_hi:[1,0]
	v_pk_fma_f32 v[16:17], v[18:19], s[2:3], v[6:7] op_sel_hi:[1,0,1]
	s_nop 0
	v_pk_add_f32 v[18:19], v[16:17], v[12:13] op_sel:[0,1] op_sel_hi:[1,0]
	v_pk_add_f32 v[12:13], v[16:17], v[12:13] op_sel:[0,1] op_sel_hi:[1,0] neg_lo:[0,1] neg_hi:[0,1]
	s_nop 0
	v_mov_b32_e32 v19, v13
	v_pk_fma_f32 v[6:7], v[6:7], 2.0, v[18:19] op_sel_hi:[1,0,1] neg_lo:[0,0,1] neg_hi:[0,0,1]
	ds_write2_b64 v1, v[6:7], v[14:15] offset0:96 offset1:112
	ds_write2_b64 v1, v[8:9], v[42:43] offset0:128 offset1:144
	;; [unrolled: 1-line block ×5, first 2 shown]
.LBB0_19:
	s_or_b64 exec, exec, s[6:7]
	v_mov_b32_e32 v1, s23
	v_cmp_gt_u64_e32 vcc, s[18:19], v[0:1]
	s_or_b64 s[0:1], s[0:1], vcc
	s_waitcnt lgkmcnt(0)
	s_barrier
	s_and_saveexec_b64 s[2:3], s[0:1]
	s_cbranch_execz .LBB0_21
; %bb.20:
	v_lshlrev_b32_e32 v0, 7, v38
	s_waitcnt vmcnt(5)
	v_add3_u32 v28, 0, v0, v4
	v_mul_u32_u24_e32 v0, 7, v38
	v_lshlrev_b32_e32 v29, 3, v0
	ds_read2st64_b64 v[4:7], v28 offset0:16 offset1:20
	ds_read2st64_b64 v[8:11], v28 offset0:8 offset1:12
	global_load_dwordx4 v[12:15], v29, s[20:21]
	global_load_dwordx4 v[16:19], v29, s[20:21] offset:16
	ds_read2st64_b64 v[20:23], v28 offset0:24 offset1:28
	global_load_dwordx4 v[24:27], v29, s[20:21] offset:32
	global_load_dwordx2 v[0:1], v29, s[20:21] offset:48
	s_mul_i32 s0, s5, s24
	s_mul_hi_u32 s1, s4, s24
	s_waitcnt vmcnt(8)
	v_mad_u64_u32 v[32:33], s[2:3], s10, v39, 0
	s_add_i32 s1, s1, s0
	s_mul_i32 s0, s4, s24
	s_waitcnt vmcnt(5)
	v_mov_b32_e32 v34, v33
	v_mad_u64_u32 v[34:35], s[2:3], s11, v39, v[34:35]
	s_lshl_b64 s[0:1], s[0:1], 3
	v_mov_b32_e32 v33, v34
	v_mad_u64_u32 v[34:35], s[2:3], s8, v38, 0
	s_add_u32 s0, s16, s0
	s_waitcnt vmcnt(4)
	v_mov_b32_e32 v36, v35
	s_addc_u32 s1, s17, s1
	v_lshlrev_b64 v[2:3], 3, v[2:3]
	v_mad_u64_u32 v[36:37], s[2:3], s9, v38, v[36:37]
	v_lshl_add_u64 v[2:3], s[0:1], 0, v[2:3]
	v_mov_b32_e32 v35, v36
	v_lshl_add_u64 v[2:3], v[32:33], 3, v[2:3]
	v_or_b32_e32 v37, 16, v38
	v_lshl_add_u64 v[32:33], v[34:35], 3, v[2:3]
	v_mad_u64_u32 v[34:35], s[0:1], s8, v37, 0
	v_mov_b32_e32 v36, v35
	v_mad_u64_u32 v[36:37], s[0:1], s9, v37, v[36:37]
	v_or_b32_e32 v39, 32, v38
	v_mov_b32_e32 v35, v36
	v_mad_u64_u32 v[36:37], s[0:1], s8, v39, 0
	v_mov_b32_e32 v40, v37
	v_mad_u64_u32 v[40:41], s[0:1], s9, v39, v[40:41]
	v_or_b32_e32 v39, 48, v38
	v_mov_b32_e32 v37, v40
	;; [unrolled: 5-line block ×5, first 2 shown]
	v_mad_u64_u32 v[46:47], s[0:1], s8, v39, 0
	v_mov_b32_e32 v48, v47
	v_mad_u64_u32 v[48:49], s[0:1], s9, v39, v[48:49]
	v_or_b32_e32 v49, 0x70, v38
	v_mad_u64_u32 v[38:39], s[0:1], s8, v49, 0
	v_mov_b32_e32 v47, v48
	v_mov_b32_e32 v48, v39
	v_mad_u64_u32 v[48:49], s[0:1], s9, v49, v[48:49]
	v_mov_b32_e32 v39, v48
	v_lshl_add_u64 v[34:35], v[34:35], 3, v[2:3]
	v_lshl_add_u64 v[36:37], v[36:37], 3, v[2:3]
	;; [unrolled: 1-line block ×7, first 2 shown]
	s_waitcnt vmcnt(2) lgkmcnt(2)
	v_pk_mul_f32 v[38:39], v[18:19], v[4:5] op_sel:[0,1]
	ds_read2st64_b64 v[28:31], v28 offset1:4
	v_pk_fma_f32 v[48:49], v[18:19], v[4:5], v[38:39] op_sel:[0,0,1] op_sel_hi:[1,1,0]
	v_pk_fma_f32 v[4:5], v[18:19], v[4:5], v[38:39] op_sel:[0,0,1] op_sel_hi:[1,0,0] neg_lo:[1,0,0] neg_hi:[1,0,0]
	v_mov_b32_e32 v38, v15
	v_mov_b32_e32 v39, v14
	s_waitcnt lgkmcnt(2)
	v_mov_b32_e32 v18, v9
	v_pk_mul_f32 v[38:39], v[38:39], v[8:9] op_sel_hi:[1,0]
	v_mov_b32_e32 v49, v5
	v_pk_fma_f32 v[18:19], v[14:15], v[18:19], v[38:39] neg_lo:[0,0,1] neg_hi:[0,0,1]
	v_pk_fma_f32 v[8:9], v[14:15], v[8:9], v[38:39] op_sel:[0,1,0]
	s_waitcnt vmcnt(1)
	v_mov_b32_e32 v14, v27
	v_mov_b32_e32 v15, v26
	s_waitcnt lgkmcnt(1)
	v_mov_b32_e32 v8, v21
	v_pk_mul_f32 v[14:15], v[14:15], v[20:21] op_sel_hi:[1,0]
	v_mov_b32_e32 v19, v9
	v_pk_fma_f32 v[8:9], v[8:9], v[26:27], v[14:15] neg_lo:[0,0,1] neg_hi:[0,0,1]
	v_pk_fma_f32 v[14:15], v[20:21], v[26:27], v[14:15] op_sel:[1,0,0]
	s_waitcnt lgkmcnt(0)
	v_pk_add_f32 v[4:5], v[28:29], v[48:49] neg_lo:[0,1] neg_hi:[0,1]
	v_mov_b32_e32 v9, v15
	v_pk_add_f32 v[8:9], v[18:19], v[8:9] neg_lo:[0,1] neg_hi:[0,1]
	v_mov_b32_e32 v27, v24
	v_pk_add_f32 v[14:15], v[4:5], v[8:9]
	v_pk_add_f32 v[20:21], v[4:5], v[8:9] neg_lo:[0,1] neg_hi:[0,1]
	v_mov_b32_e32 v38, v22
	v_mov_b32_e32 v15, v21
	;; [unrolled: 1-line block ×8, first 2 shown]
	v_pk_mul_f32 v[16:17], v[12:13], v[30:31]
	v_mov_b32_e32 v39, v6
	s_waitcnt vmcnt(0)
	v_mov_b32_e32 v24, v1
	v_mov_b32_e32 v6, v23
	v_pk_mul_f32 v[12:13], v[12:13], v[20:21]
	v_pk_fma_f32 v[16:17], v[10:11], v[20:21], v[16:17]
	v_mov_b32_e32 v26, v0
	v_pk_mul_f32 v[0:1], v[24:25], v[6:7]
	v_pk_fma_f32 v[10:11], v[10:11], v[30:31], v[12:13] neg_lo:[0,0,1] neg_hi:[0,0,1]
	v_pk_mul_f32 v[12:13], v[24:25], v[38:39]
	v_pk_fma_f32 v[0:1], v[26:27], v[38:39], v[0:1]
	v_pk_fma_f32 v[6:7], v[26:27], v[6:7], v[12:13] neg_lo:[0,0,1] neg_hi:[0,0,1]
	v_pk_add_f32 v[0:1], v[16:17], v[0:1] neg_lo:[0,1] neg_hi:[0,1]
	v_pk_add_f32 v[6:7], v[10:11], v[6:7] neg_lo:[0,1] neg_hi:[0,1]
	s_mov_b32 s0, 0x3f3504f3
	v_pk_add_f32 v[12:13], v[6:7], v[0:1] op_sel:[0,1] op_sel_hi:[1,0]
	v_pk_add_f32 v[20:21], v[6:7], v[0:1] op_sel:[0,1] op_sel_hi:[1,0] neg_lo:[0,1] neg_hi:[0,1]
	v_pk_fma_f32 v[8:9], v[18:19], 2.0, v[8:9] op_sel_hi:[1,0,1] neg_lo:[0,0,1] neg_hi:[0,0,1]
	v_mov_b32_e32 v13, v21
	v_pk_mul_f32 v[20:21], v[12:13], s[0:1] op_sel_hi:[1,0]
	v_pk_fma_f32 v[22:23], v[12:13], s[0:1], v[14:15] op_sel_hi:[1,0,1]
	v_mov_b32_e32 v18, v11
	v_pk_add_f32 v[24:25], v[22:23], v[20:21] op_sel:[0,1] op_sel_hi:[1,0]
	v_pk_add_f32 v[20:21], v[22:23], v[20:21] op_sel:[0,1] op_sel_hi:[1,0] neg_lo:[0,1] neg_hi:[0,1]
	v_mov_b32_e32 v11, v16
	v_mov_b32_e32 v16, v6
	;; [unrolled: 1-line block ×4, first 2 shown]
	v_pk_fma_f32 v[20:21], v[28:29], 2.0, v[4:5] op_sel_hi:[1,0,1] neg_lo:[0,0,1] neg_hi:[0,0,1]
	v_mov_b32_e32 v19, v17
	v_mov_b32_e32 v22, v7
	;; [unrolled: 1-line block ×4, first 2 shown]
	v_pk_fma_f32 v[4:5], v[4:5], 2.0, v[14:15] op_sel_hi:[1,0,1] neg_lo:[0,0,1] neg_hi:[0,0,1]
	v_pk_fma_f32 v[0:1], v[6:7], 2.0, v[12:13] op_sel_hi:[1,0,1] neg_lo:[0,0,1] neg_hi:[0,0,1]
	;; [unrolled: 1-line block ×4, first 2 shown]
	v_pk_mul_f32 v[6:7], v[0:1], s[0:1] op_sel_hi:[1,0]
	v_pk_fma_f32 v[0:1], v[0:1], s[0:1], v[4:5] op_sel_hi:[1,0,1] neg_lo:[1,0,0] neg_hi:[1,0,0]
	v_pk_add_f32 v[8:9], v[20:21], v[8:9] op_sel:[0,1] op_sel_hi:[1,0] neg_lo:[0,1] neg_hi:[0,1]
	v_pk_add_f32 v[10:11], v[18:19], v[10:11] neg_lo:[0,1] neg_hi:[0,1]
	v_pk_add_f32 v[12:13], v[0:1], v[6:7] op_sel:[0,1] op_sel_hi:[1,0]
	v_pk_add_f32 v[0:1], v[0:1], v[6:7] op_sel:[0,1] op_sel_hi:[1,0] neg_lo:[0,1] neg_hi:[0,1]
	v_pk_fma_f32 v[6:7], v[18:19], 2.0, v[10:11] op_sel_hi:[1,0,1] neg_lo:[0,0,1] neg_hi:[0,0,1]
	v_mov_b32_e32 v13, v1
	v_pk_fma_f32 v[0:1], v[20:21], 2.0, v[8:9] op_sel_hi:[1,0,1] neg_lo:[0,0,1] neg_hi:[0,0,1]
	v_pk_add_f32 v[16:17], v[8:9], v[10:11]
	v_pk_add_f32 v[6:7], v[0:1], v[6:7] op_sel:[0,1] op_sel_hi:[1,0] neg_lo:[0,1] neg_hi:[0,1]
	v_pk_add_f32 v[22:23], v[8:9], v[10:11] neg_lo:[0,1] neg_hi:[0,1]
	v_pk_fma_f32 v[0:1], v[0:1], 2.0, v[6:7] op_sel_hi:[1,0,1] neg_lo:[0,0,1] neg_hi:[0,0,1]
	v_mov_b32_e32 v17, v23
	global_store_dwordx2 v[32:33], v[0:1], off
	v_pk_fma_f32 v[0:1], v[4:5], 2.0, v[12:13] op_sel_hi:[1,0,1] neg_lo:[0,0,1] neg_hi:[0,0,1]
	global_store_dwordx2 v[34:35], v[0:1], off
	v_pk_fma_f32 v[0:1], v[8:9], 2.0, v[16:17] op_sel_hi:[1,0,1] neg_lo:[0,0,1] neg_hi:[0,0,1]
	;; [unrolled: 2-line block ×3, first 2 shown]
	global_store_dwordx2 v[40:41], v[0:1], off
	global_store_dwordx2 v[42:43], v[6:7], off
	;; [unrolled: 1-line block ×5, first 2 shown]
.LBB0_21:
	s_endpgm
	.section	.rodata,"a",@progbits
	.p2align	6, 0x0
	.amdhsa_kernel fft_rtc_back_len128_factors_16_8_wgs_256_tpt_16_sp_op_CI_CI_sbcc_dirReg
		.amdhsa_group_segment_fixed_size 0
		.amdhsa_private_segment_fixed_size 0
		.amdhsa_kernarg_size 112
		.amdhsa_user_sgpr_count 2
		.amdhsa_user_sgpr_dispatch_ptr 0
		.amdhsa_user_sgpr_queue_ptr 0
		.amdhsa_user_sgpr_kernarg_segment_ptr 1
		.amdhsa_user_sgpr_dispatch_id 0
		.amdhsa_user_sgpr_kernarg_preload_length 0
		.amdhsa_user_sgpr_kernarg_preload_offset 0
		.amdhsa_user_sgpr_private_segment_size 0
		.amdhsa_uses_dynamic_stack 0
		.amdhsa_enable_private_segment 0
		.amdhsa_system_sgpr_workgroup_id_x 1
		.amdhsa_system_sgpr_workgroup_id_y 0
		.amdhsa_system_sgpr_workgroup_id_z 0
		.amdhsa_system_sgpr_workgroup_info 0
		.amdhsa_system_vgpr_workitem_id 0
		.amdhsa_next_free_vgpr 68
		.amdhsa_next_free_sgpr 51
		.amdhsa_accum_offset 68
		.amdhsa_reserve_vcc 1
		.amdhsa_float_round_mode_32 0
		.amdhsa_float_round_mode_16_64 0
		.amdhsa_float_denorm_mode_32 3
		.amdhsa_float_denorm_mode_16_64 3
		.amdhsa_dx10_clamp 1
		.amdhsa_ieee_mode 1
		.amdhsa_fp16_overflow 0
		.amdhsa_tg_split 0
		.amdhsa_exception_fp_ieee_invalid_op 0
		.amdhsa_exception_fp_denorm_src 0
		.amdhsa_exception_fp_ieee_div_zero 0
		.amdhsa_exception_fp_ieee_overflow 0
		.amdhsa_exception_fp_ieee_underflow 0
		.amdhsa_exception_fp_ieee_inexact 0
		.amdhsa_exception_int_div_zero 0
	.end_amdhsa_kernel
	.text
.Lfunc_end0:
	.size	fft_rtc_back_len128_factors_16_8_wgs_256_tpt_16_sp_op_CI_CI_sbcc_dirReg, .Lfunc_end0-fft_rtc_back_len128_factors_16_8_wgs_256_tpt_16_sp_op_CI_CI_sbcc_dirReg
                                        ; -- End function
	.section	.AMDGPU.csdata,"",@progbits
; Kernel info:
; codeLenInByte = 5196
; NumSgprs: 57
; NumVgprs: 68
; NumAgprs: 0
; TotalNumVgprs: 68
; ScratchSize: 0
; MemoryBound: 0
; FloatMode: 240
; IeeeMode: 1
; LDSByteSize: 0 bytes/workgroup (compile time only)
; SGPRBlocks: 7
; VGPRBlocks: 8
; NumSGPRsForWavesPerEU: 57
; NumVGPRsForWavesPerEU: 68
; AccumOffset: 68
; Occupancy: 7
; WaveLimiterHint : 1
; COMPUTE_PGM_RSRC2:SCRATCH_EN: 0
; COMPUTE_PGM_RSRC2:USER_SGPR: 2
; COMPUTE_PGM_RSRC2:TRAP_HANDLER: 0
; COMPUTE_PGM_RSRC2:TGID_X_EN: 1
; COMPUTE_PGM_RSRC2:TGID_Y_EN: 0
; COMPUTE_PGM_RSRC2:TGID_Z_EN: 0
; COMPUTE_PGM_RSRC2:TIDIG_COMP_CNT: 0
; COMPUTE_PGM_RSRC3_GFX90A:ACCUM_OFFSET: 16
; COMPUTE_PGM_RSRC3_GFX90A:TG_SPLIT: 0
	.text
	.p2alignl 6, 3212836864
	.fill 256, 4, 3212836864
	.type	__hip_cuid_c57ea7e39a5c43c0,@object ; @__hip_cuid_c57ea7e39a5c43c0
	.section	.bss,"aw",@nobits
	.globl	__hip_cuid_c57ea7e39a5c43c0
__hip_cuid_c57ea7e39a5c43c0:
	.byte	0                               ; 0x0
	.size	__hip_cuid_c57ea7e39a5c43c0, 1

	.ident	"AMD clang version 19.0.0git (https://github.com/RadeonOpenCompute/llvm-project roc-6.4.0 25133 c7fe45cf4b819c5991fe208aaa96edf142730f1d)"
	.section	".note.GNU-stack","",@progbits
	.addrsig
	.addrsig_sym __hip_cuid_c57ea7e39a5c43c0
	.amdgpu_metadata
---
amdhsa.kernels:
  - .agpr_count:     0
    .args:
      - .actual_access:  read_only
        .address_space:  global
        .offset:         0
        .size:           8
        .value_kind:     global_buffer
      - .address_space:  global
        .offset:         8
        .size:           8
        .value_kind:     global_buffer
      - .offset:         16
        .size:           8
        .value_kind:     by_value
      - .actual_access:  read_only
        .address_space:  global
        .offset:         24
        .size:           8
        .value_kind:     global_buffer
      - .actual_access:  read_only
        .address_space:  global
        .offset:         32
        .size:           8
        .value_kind:     global_buffer
      - .actual_access:  read_only
        .address_space:  global
        .offset:         40
        .size:           8
        .value_kind:     global_buffer
      - .offset:         48
        .size:           8
        .value_kind:     by_value
      - .actual_access:  read_only
        .address_space:  global
        .offset:         56
        .size:           8
        .value_kind:     global_buffer
      - .actual_access:  read_only
        .address_space:  global
        .offset:         64
        .size:           8
        .value_kind:     global_buffer
      - .offset:         72
        .size:           4
        .value_kind:     by_value
      - .actual_access:  read_only
        .address_space:  global
        .offset:         80
        .size:           8
        .value_kind:     global_buffer
      - .actual_access:  read_only
        .address_space:  global
        .offset:         88
        .size:           8
        .value_kind:     global_buffer
      - .actual_access:  read_only
        .address_space:  global
        .offset:         96
        .size:           8
        .value_kind:     global_buffer
      - .actual_access:  write_only
        .address_space:  global
        .offset:         104
        .size:           8
        .value_kind:     global_buffer
    .group_segment_fixed_size: 0
    .kernarg_segment_align: 8
    .kernarg_segment_size: 112
    .language:       OpenCL C
    .language_version:
      - 2
      - 0
    .max_flat_workgroup_size: 256
    .name:           fft_rtc_back_len128_factors_16_8_wgs_256_tpt_16_sp_op_CI_CI_sbcc_dirReg
    .private_segment_fixed_size: 0
    .sgpr_count:     57
    .sgpr_spill_count: 0
    .symbol:         fft_rtc_back_len128_factors_16_8_wgs_256_tpt_16_sp_op_CI_CI_sbcc_dirReg.kd
    .uniform_work_group_size: 1
    .uses_dynamic_stack: false
    .vgpr_count:     68
    .vgpr_spill_count: 0
    .wavefront_size: 64
amdhsa.target:   amdgcn-amd-amdhsa--gfx950
amdhsa.version:
  - 1
  - 2
...

	.end_amdgpu_metadata
